;; amdgpu-corpus repo=ROCm/rocFFT kind=compiled arch=gfx906 opt=O3
	.text
	.amdgcn_target "amdgcn-amd-amdhsa--gfx906"
	.amdhsa_code_object_version 6
	.protected	fft_rtc_back_len26_factors_13_2_wgs_64_tpt_2_dim1_dp_op_CI_CI_unitstride_sbrr_R2C_dirReg ; -- Begin function fft_rtc_back_len26_factors_13_2_wgs_64_tpt_2_dim1_dp_op_CI_CI_unitstride_sbrr_R2C_dirReg
	.globl	fft_rtc_back_len26_factors_13_2_wgs_64_tpt_2_dim1_dp_op_CI_CI_unitstride_sbrr_R2C_dirReg
	.p2align	8
	.type	fft_rtc_back_len26_factors_13_2_wgs_64_tpt_2_dim1_dp_op_CI_CI_unitstride_sbrr_R2C_dirReg,@function
fft_rtc_back_len26_factors_13_2_wgs_64_tpt_2_dim1_dp_op_CI_CI_unitstride_sbrr_R2C_dirReg: ; @fft_rtc_back_len26_factors_13_2_wgs_64_tpt_2_dim1_dp_op_CI_CI_unitstride_sbrr_R2C_dirReg
; %bb.0:
	s_load_dwordx2 s[0:1], s[4:5], 0x20
	v_lshrrev_b32_e32 v1, 1, v0
	v_lshl_or_b32 v58, s6, 5, v1
	v_mov_b32_e32 v59, 0
	v_and_b32_e32 v56, 1, v0
	s_waitcnt lgkmcnt(0)
	v_cmp_gt_u64_e32 vcc, s[0:1], v[58:59]
	v_cmp_le_u64_e64 s[0:1], s[0:1], v[58:59]
                                        ; implicit-def: $vgpr63
                                        ; implicit-def: $vgpr62
                                        ; implicit-def: $vgpr61
                                        ; implicit-def: $vgpr60
                                        ; implicit-def: $vgpr59
	s_and_saveexec_b64 s[2:3], s[0:1]
	s_xor_b64 s[0:1], exec, s[2:3]
; %bb.1:
	v_and_b32_e32 v56, 1, v0
	v_or_b32_e32 v63, 2, v56
	v_or_b32_e32 v62, 4, v56
	;; [unrolled: 1-line block ×5, first 2 shown]
; %bb.2:
	s_or_saveexec_b64 s[2:3], s[0:1]
	s_load_dwordx2 s[6:7], s[4:5], 0x18
	s_load_dwordx2 s[8:9], s[4:5], 0x0
	v_mul_u32_u24_e32 v0, 27, v1
	v_lshlrev_b32_e32 v0, 4, v0
	s_xor_b64 exec, exec, s[2:3]
	s_cbranch_execz .LBB0_4
; %bb.3:
	s_load_dwordx2 s[0:1], s[4:5], 0x10
	s_load_dwordx2 s[10:11], s[4:5], 0x50
	v_lshlrev_b32_e32 v55, 4, v56
	v_or_b32_e32 v63, 2, v56
	v_or_b32_e32 v62, 4, v56
	s_waitcnt lgkmcnt(0)
	s_load_dwordx2 s[0:1], s[0:1], 0x8
	v_or_b32_e32 v61, 6, v56
	v_or_b32_e32 v60, 8, v56
	;; [unrolled: 1-line block ×3, first 2 shown]
	s_waitcnt lgkmcnt(0)
	v_mad_u64_u32 v[1:2], s[12:13], s0, v58, 0
	v_mad_u64_u32 v[2:3], s[0:1], s1, v58, v[2:3]
	v_mov_b32_e32 v3, s11
	v_lshlrev_b64 v[1:2], 4, v[1:2]
	v_add_co_u32_e64 v1, s[0:1], s10, v1
	v_addc_co_u32_e64 v2, s[0:1], v3, v2, s[0:1]
	v_add_co_u32_e64 v53, s[0:1], v1, v55
	v_addc_co_u32_e64 v54, s[0:1], 0, v2, s[0:1]
	global_load_dwordx4 v[1:4], v[53:54], off
	global_load_dwordx4 v[5:8], v[53:54], off offset:32
	global_load_dwordx4 v[9:12], v[53:54], off offset:64
	;; [unrolled: 1-line block ×12, first 2 shown]
	v_add3_u32 v53, 0, v0, v55
	s_waitcnt vmcnt(12)
	ds_write_b128 v53, v[1:4]
	s_waitcnt vmcnt(11)
	ds_write_b128 v53, v[5:8] offset:32
	s_waitcnt vmcnt(10)
	ds_write_b128 v53, v[9:12] offset:64
	;; [unrolled: 2-line block ×12, first 2 shown]
.LBB0_4:
	s_or_b64 exec, exec, s[2:3]
	v_add_u32_e32 v72, 0, v0
	v_lshlrev_b32_e32 v74, 4, v56
	v_add_u32_e32 v73, v72, v74
	s_waitcnt lgkmcnt(0)
	s_load_dwordx2 s[10:11], s[6:7], 0x8
	s_waitcnt lgkmcnt(0)
	; wave barrier
	s_waitcnt lgkmcnt(0)
	v_add3_u32 v75, 0, v74, v0
	ds_read_b128 v[0:3], v73
	ds_read_b128 v[4:7], v75 offset:32
	ds_read_b128 v[8:11], v75 offset:64
	;; [unrolled: 1-line block ×6, first 2 shown]
	s_waitcnt lgkmcnt(5)
	v_add_f64 v[16:17], v[0:1], v[4:5]
	v_add_f64 v[18:19], v[2:3], v[6:7]
	ds_read_b128 v[28:31], v75 offset:224
	ds_read_b128 v[42:45], v75 offset:256
	;; [unrolled: 1-line block ×6, first 2 shown]
	s_mov_b32 s16, 0x42a4c3d2
	s_waitcnt lgkmcnt(5)
	v_add_f64 v[20:21], v[24:25], v[30:31]
	v_add_f64 v[26:27], v[24:25], -v[30:31]
	s_mov_b32 s2, 0x66966769
	v_add_f64 v[16:17], v[16:17], v[8:9]
	v_add_f64 v[18:19], v[18:19], v[10:11]
	s_mov_b32 s17, 0xbfea55e2
	s_mov_b32 s3, 0xbfefc445
	s_waitcnt lgkmcnt(0)
	v_add_f64 v[78:79], v[4:5], v[68:69]
	v_add_f64 v[80:81], v[4:5], -v[68:69]
	s_mov_b32 s22, 0x4267c47c
	s_mov_b32 s14, 0x1ea71119
	v_add_f64 v[16:17], v[16:17], v[12:13]
	v_add_f64 v[18:19], v[18:19], v[14:15]
	s_mov_b32 s0, 0xebaa3ed8
	s_mov_b32 s6, 0x2ef20147
	s_mov_b32 s20, 0x24c2f84
	s_mov_b32 s40, 0x4bc48dbf
	s_mov_b32 s23, 0xbfddbe06
	s_mov_b32 s15, 0x3fe22d96
	v_add_f64 v[16:17], v[16:17], v[38:39]
	v_add_f64 v[18:19], v[18:19], v[40:41]
	s_mov_b32 s1, 0x3fbedb7d
	s_mov_b32 s7, 0xbfedeba7
	s_mov_b32 s21, 0xbfe5384d
	s_mov_b32 s41, 0xbfcea1e5
	;; [unrolled: 8-line block ×3, first 2 shown]
	s_mov_b32 s27, 0xbfe7f3cc
	s_mov_b32 s39, 0xbfef11f4
	v_add_f64 v[36:37], v[16:17], v[22:23]
	v_add_f64 v[54:55], v[18:19], v[24:25]
	v_add_f64 v[18:19], v[22:23], v[28:29]
	v_add_f64 v[16:17], v[22:23], -v[28:29]
	v_add_f64 v[22:23], v[32:33], v[42:43]
	v_add_f64 v[24:25], v[32:33], -v[42:43]
	v_add_f64 v[32:33], v[38:39], -v[46:47]
	s_mov_b32 s35, 0x3fddbe06
	v_add_f64 v[76:77], v[36:37], v[28:29]
	v_add_f64 v[54:55], v[54:55], v[30:31]
	;; [unrolled: 1-line block ×3, first 2 shown]
	v_add_f64 v[40:41], v[40:41], -v[48:49]
	v_add_f64 v[28:29], v[38:39], v[46:47]
	v_add_f64 v[38:39], v[12:13], v[50:51]
	v_add_f64 v[12:13], v[12:13], -v[50:51]
	v_add_f64 v[30:31], v[34:35], v[44:45]
	v_add_f64 v[76:77], v[76:77], v[42:43]
	;; [unrolled: 1-line block ×3, first 2 shown]
	v_add_f64 v[34:35], v[34:35], -v[44:45]
	v_add_f64 v[42:43], v[14:15], v[52:53]
	v_add_f64 v[44:45], v[14:15], -v[52:53]
	v_add_f64 v[14:15], v[8:9], v[64:65]
	v_add_f64 v[8:9], v[8:9], -v[64:65]
	s_mov_b32 s34, s22
	v_add_f64 v[76:77], v[76:77], v[46:47]
	v_add_f64 v[48:49], v[54:55], v[48:49]
	v_add_f64 v[54:55], v[6:7], -v[70:71]
	v_add_f64 v[46:47], v[10:11], v[66:67]
	v_add_f64 v[10:11], v[10:11], -v[66:67]
	s_mov_b32 s29, 0x3fea55e2
	s_mov_b32 s28, s16
	;; [unrolled: 1-line block ×3, first 2 shown]
	v_add_f64 v[50:51], v[76:77], v[50:51]
	v_add_f64 v[48:49], v[48:49], v[52:53]
	;; [unrolled: 1-line block ×3, first 2 shown]
	v_mul_f64 v[6:7], v[54:55], s[16:17]
	v_mul_f64 v[4:5], v[54:55], s[2:3]
	;; [unrolled: 1-line block ×4, first 2 shown]
	s_mov_b32 s24, s2
	v_add_f64 v[50:51], v[50:51], v[64:65]
	v_add_f64 v[48:49], v[48:49], v[66:67]
	v_mul_f64 v[94:95], v[76:77], s[0:1]
	v_fma_f64 v[66:67], v[78:79], s[14:15], v[6:7]
	v_fma_f64 v[84:85], v[78:79], s[14:15], -v[6:7]
	v_fma_f64 v[86:87], v[78:79], s[0:1], v[4:5]
	v_fma_f64 v[88:89], v[78:79], s[0:1], -v[4:5]
	v_fma_f64 v[64:65], v[78:79], s[18:19], v[52:53]
	v_add_f64 v[4:5], v[50:51], v[68:69]
	v_add_f64 v[6:7], v[48:49], v[70:71]
	v_mul_f64 v[48:49], v[54:55], s[20:21]
	v_mul_f64 v[50:51], v[54:55], s[40:41]
	v_fma_f64 v[52:53], v[78:79], s[18:19], -v[52:53]
	v_fma_f64 v[54:55], v[78:79], s[12:13], v[82:83]
	v_fma_f64 v[68:69], v[78:79], s[12:13], -v[82:83]
	v_mul_f64 v[82:83], v[76:77], s[18:19]
	v_mul_f64 v[98:99], v[76:77], s[12:13]
	v_fma_f64 v[100:101], v[80:81], s[24:25], v[94:95]
	v_fma_f64 v[70:71], v[78:79], s[26:27], v[48:49]
	v_fma_f64 v[48:49], v[78:79], s[26:27], -v[48:49]
	v_fma_f64 v[90:91], v[78:79], s[38:39], v[50:51]
	v_fma_f64 v[50:51], v[78:79], s[38:39], -v[50:51]
	v_mul_f64 v[78:79], v[76:77], s[14:15]
	v_fma_f64 v[92:93], v[80:81], s[34:35], v[82:83]
	v_mul_f64 v[102:103], v[76:77], s[26:27]
	v_mul_f64 v[76:77], v[76:77], s[38:39]
	s_mov_b32 s31, 0x3fedeba7
	s_mov_b32 s30, s6
	;; [unrolled: 1-line block ×4, first 2 shown]
	v_fma_f64 v[96:97], v[80:81], s[28:29], v[78:79]
	s_mov_b32 s43, 0x3fcea1e5
	s_mov_b32 s42, s40
	v_fma_f64 v[82:83], v[80:81], s[22:23], v[82:83]
	v_fma_f64 v[78:79], v[80:81], s[16:17], v[78:79]
	;; [unrolled: 1-line block ×9, first 2 shown]
	v_add_f64 v[80:81], v[2:3], v[92:93]
	v_add_f64 v[92:93], v[2:3], v[96:97]
	;; [unrolled: 1-line block ×4, first 2 shown]
	v_mul_f64 v[54:55], v[10:11], s[16:17]
	v_mul_f64 v[110:111], v[46:47], s[14:15]
	v_add_f64 v[64:65], v[0:1], v[64:65]
	v_add_f64 v[112:113], v[0:1], v[68:69]
	;; [unrolled: 1-line block ×4, first 2 shown]
	v_mul_f64 v[70:71], v[44:45], s[2:3]
	v_mul_f64 v[118:119], v[42:43], s[0:1]
	v_fma_f64 v[48:49], v[14:15], s[14:15], v[54:55]
	v_fma_f64 v[68:69], v[8:9], s[28:29], v[110:111]
	v_add_f64 v[52:53], v[0:1], v[52:53]
	v_add_f64 v[82:83], v[2:3], v[82:83]
	v_add_f64 v[66:67], v[0:1], v[66:67]
	v_add_f64 v[84:85], v[0:1], v[84:85]
	v_add_f64 v[78:79], v[2:3], v[78:79]
	v_add_f64 v[86:87], v[0:1], v[86:87]
	v_add_f64 v[88:89], v[0:1], v[88:89]
	v_add_f64 v[94:95], v[2:3], v[94:95]
	v_add_f64 v[104:105], v[2:3], v[104:105]
	v_add_f64 v[98:99], v[2:3], v[98:99]
	v_add_f64 v[106:107], v[2:3], v[106:107]
	v_add_f64 v[102:103], v[2:3], v[102:103]
	v_add_f64 v[90:91], v[0:1], v[90:91]
	v_add_f64 v[108:109], v[2:3], v[108:109]
	v_add_f64 v[120:121], v[0:1], v[50:51]
	v_add_f64 v[122:123], v[2:3], v[76:77]
	v_add_f64 v[0:1], v[48:49], v[64:65]
	v_add_f64 v[2:3], v[68:69], v[80:81]
	v_fma_f64 v[48:49], v[38:39], s[0:1], v[70:71]
	v_fma_f64 v[50:51], v[12:13], s[24:25], v[118:119]
	v_mul_f64 v[64:65], v[40:41], s[6:7]
	v_mul_f64 v[68:69], v[36:37], s[12:13]
	v_fma_f64 v[54:55], v[14:15], s[14:15], -v[54:55]
	v_fma_f64 v[76:77], v[8:9], s[16:17], v[110:111]
	v_mul_f64 v[80:81], v[30:31], s[26:27]
	v_fma_f64 v[70:71], v[38:39], s[0:1], -v[70:71]
	v_add_f64 v[0:1], v[48:49], v[0:1]
	v_add_f64 v[2:3], v[50:51], v[2:3]
	v_fma_f64 v[48:49], v[28:29], s[12:13], v[64:65]
	v_fma_f64 v[50:51], v[32:33], s[30:31], v[68:69]
	v_add_f64 v[52:53], v[54:55], v[52:53]
	v_mul_f64 v[54:55], v[34:35], s[20:21]
	v_add_f64 v[76:77], v[76:77], v[82:83]
	v_fma_f64 v[82:83], v[12:13], s[2:3], v[118:119]
	v_fma_f64 v[64:65], v[28:29], s[12:13], -v[64:65]
	v_fma_f64 v[68:69], v[32:33], s[6:7], v[68:69]
	v_add_f64 v[0:1], v[48:49], v[0:1]
	v_add_f64 v[2:3], v[50:51], v[2:3]
	v_fma_f64 v[50:51], v[24:25], s[36:37], v[80:81]
	v_fma_f64 v[48:49], v[22:23], s[26:27], v[54:55]
	v_add_f64 v[52:53], v[70:71], v[52:53]
	v_mul_f64 v[70:71], v[26:27], s[40:41]
	v_add_f64 v[76:77], v[82:83], v[76:77]
	v_mul_f64 v[82:83], v[20:21], s[38:39]
	v_fma_f64 v[54:55], v[22:23], s[26:27], -v[54:55]
	v_add_f64 v[2:3], v[50:51], v[2:3]
	v_add_f64 v[0:1], v[48:49], v[0:1]
	;; [unrolled: 1-line block ×3, first 2 shown]
	v_fma_f64 v[48:49], v[18:19], s[38:39], v[70:71]
	v_add_f64 v[64:65], v[68:69], v[76:77]
	v_fma_f64 v[50:51], v[16:17], s[42:43], v[82:83]
	v_fma_f64 v[68:69], v[24:25], s[20:21], v[80:81]
	v_mul_f64 v[76:77], v[10:11], s[6:7]
	v_mul_f64 v[80:81], v[46:47], s[12:13]
	v_fma_f64 v[70:71], v[18:19], s[38:39], -v[70:71]
	v_fma_f64 v[82:83], v[16:17], s[40:41], v[82:83]
	v_add_f64 v[48:49], v[48:49], v[0:1]
	v_add_f64 v[0:1], v[54:55], v[52:53]
	;; [unrolled: 1-line block ×4, first 2 shown]
	v_fma_f64 v[52:53], v[14:15], s[12:13], v[76:77]
	v_fma_f64 v[54:55], v[8:9], s[30:31], v[80:81]
	v_mul_f64 v[64:65], v[44:45], s[40:41]
	v_mul_f64 v[68:69], v[42:43], s[38:39]
	v_fma_f64 v[76:77], v[14:15], s[12:13], -v[76:77]
	v_fma_f64 v[80:81], v[8:9], s[6:7], v[80:81]
	v_add_f64 v[0:1], v[70:71], v[0:1]
	v_add_f64 v[2:3], v[82:83], v[2:3]
	;; [unrolled: 1-line block ×4, first 2 shown]
	v_fma_f64 v[66:67], v[38:39], s[38:39], v[64:65]
	v_fma_f64 v[92:93], v[12:13], s[42:43], v[68:69]
	v_add_f64 v[76:77], v[76:77], v[84:85]
	v_mul_f64 v[84:85], v[40:41], s[36:37]
	v_add_f64 v[78:79], v[80:81], v[78:79]
	v_mul_f64 v[80:81], v[36:37], s[26:27]
	v_fma_f64 v[64:65], v[38:39], s[38:39], -v[64:65]
	v_fma_f64 v[68:69], v[12:13], s[40:41], v[68:69]
	v_add_f64 v[52:53], v[66:67], v[52:53]
	v_add_f64 v[54:55], v[92:93], v[54:55]
	v_mul_f64 v[82:83], v[10:11], s[40:41]
	v_fma_f64 v[66:67], v[28:29], s[26:27], v[84:85]
	v_fma_f64 v[84:85], v[28:29], s[26:27], -v[84:85]
	v_fma_f64 v[92:93], v[32:33], s[20:21], v[80:81]
	v_add_f64 v[64:65], v[64:65], v[76:77]
	v_mul_f64 v[76:77], v[34:35], s[24:25]
	v_add_f64 v[68:69], v[68:69], v[78:79]
	v_mul_f64 v[78:79], v[30:31], s[0:1]
	v_fma_f64 v[80:81], v[32:33], s[36:37], v[80:81]
	v_add_f64 v[52:53], v[66:67], v[52:53]
	; wave barrier
	v_add_f64 v[54:55], v[92:93], v[54:55]
	v_add_f64 v[64:65], v[84:85], v[64:65]
	v_fma_f64 v[66:67], v[22:23], s[0:1], v[76:77]
	v_mul_f64 v[84:85], v[26:27], s[34:35]
	v_fma_f64 v[70:71], v[24:25], s[2:3], v[78:79]
	v_add_f64 v[68:69], v[80:81], v[68:69]
	v_mul_f64 v[80:81], v[20:21], s[18:19]
	v_fma_f64 v[76:77], v[22:23], s[0:1], -v[76:77]
	v_fma_f64 v[78:79], v[24:25], s[24:25], v[78:79]
	v_mul_f64 v[92:93], v[44:45], s[30:31]
	v_add_f64 v[52:53], v[66:67], v[52:53]
	v_fma_f64 v[66:67], v[18:19], s[18:19], v[84:85]
	v_add_f64 v[54:55], v[70:71], v[54:55]
	v_fma_f64 v[70:71], v[16:17], s[22:23], v[80:81]
	v_add_f64 v[64:65], v[76:77], v[64:65]
	v_add_f64 v[68:69], v[78:79], v[68:69]
	v_fma_f64 v[76:77], v[18:19], s[18:19], -v[84:85]
	v_fma_f64 v[78:79], v[16:17], s[34:35], v[80:81]
	v_fma_f64 v[80:81], v[14:15], s[38:39], v[82:83]
	v_mul_f64 v[84:85], v[46:47], s[38:39]
	v_add_f64 v[52:53], v[66:67], v[52:53]
	v_add_f64 v[54:55], v[70:71], v[54:55]
	v_fma_f64 v[82:83], v[14:15], s[38:39], -v[82:83]
	v_add_f64 v[64:65], v[76:77], v[64:65]
	v_add_f64 v[66:67], v[78:79], v[68:69]
	;; [unrolled: 1-line block ×3, first 2 shown]
	v_fma_f64 v[70:71], v[8:9], s[42:43], v[84:85]
	v_fma_f64 v[76:77], v[38:39], s[12:13], v[92:93]
	v_mul_f64 v[78:79], v[42:43], s[12:13]
	v_mul_f64 v[80:81], v[40:41], s[34:35]
	v_fma_f64 v[84:85], v[8:9], s[40:41], v[84:85]
	v_add_f64 v[82:83], v[82:83], v[88:89]
	v_mul_f64 v[88:89], v[26:27], s[20:21]
	v_fma_f64 v[92:93], v[38:39], s[12:13], -v[92:93]
	v_add_f64 v[70:71], v[70:71], v[96:97]
	v_add_f64 v[68:69], v[76:77], v[68:69]
	v_fma_f64 v[76:77], v[12:13], s[6:7], v[78:79]
	v_fma_f64 v[86:87], v[28:29], s[18:19], v[80:81]
	v_mul_f64 v[96:97], v[36:37], s[18:19]
	v_add_f64 v[84:85], v[84:85], v[94:95]
	v_fma_f64 v[78:79], v[12:13], s[30:31], v[78:79]
	v_mul_f64 v[94:95], v[20:21], s[26:27]
	v_add_f64 v[82:83], v[92:93], v[82:83]
	v_fma_f64 v[92:93], v[18:19], s[26:27], v[88:89]
	v_add_f64 v[70:71], v[76:77], v[70:71]
	v_add_f64 v[68:69], v[86:87], v[68:69]
	v_fma_f64 v[76:77], v[32:33], s[22:23], v[96:97]
	v_mul_f64 v[86:87], v[34:35], s[16:17]
	v_add_f64 v[78:79], v[78:79], v[84:85]
	v_fma_f64 v[84:85], v[16:17], s[36:37], v[94:95]
	v_fma_f64 v[80:81], v[28:29], s[18:19], -v[80:81]
	v_fma_f64 v[96:97], v[32:33], s[34:35], v[96:97]
	v_fma_f64 v[88:89], v[18:19], s[26:27], -v[88:89]
	v_fma_f64 v[94:95], v[16:17], s[20:21], v[94:95]
	v_add_f64 v[70:71], v[76:77], v[70:71]
	v_fma_f64 v[76:77], v[22:23], s[14:15], v[86:87]
	v_add_f64 v[80:81], v[80:81], v[82:83]
	v_add_f64 v[78:79], v[96:97], v[78:79]
	v_fma_f64 v[82:83], v[22:23], s[14:15], -v[86:87]
	v_mul_f64 v[96:97], v[44:45], s[34:35]
	v_add_f64 v[68:69], v[76:77], v[68:69]
	v_mul_f64 v[76:77], v[30:31], s[14:15]
	v_add_f64 v[80:81], v[82:83], v[80:81]
	v_add_f64 v[68:69], v[92:93], v[68:69]
	v_fma_f64 v[110:111], v[24:25], s[28:29], v[76:77]
	v_fma_f64 v[76:77], v[24:25], s[16:17], v[76:77]
	v_mul_f64 v[92:93], v[46:47], s[26:27]
	v_add_f64 v[70:71], v[110:111], v[70:71]
	v_add_f64 v[78:79], v[76:77], v[78:79]
	v_fma_f64 v[82:83], v[8:9], s[20:21], v[92:93]
	v_fma_f64 v[92:93], v[8:9], s[36:37], v[92:93]
	v_add_f64 v[70:71], v[84:85], v[70:71]
	v_mul_f64 v[84:85], v[10:11], s[36:37]
	v_add_f64 v[82:83], v[82:83], v[104:105]
	v_mul_f64 v[104:105], v[40:41], s[2:3]
	v_add_f64 v[92:93], v[92:93], v[98:99]
	v_add_f64 v[78:79], v[94:95], v[78:79]
	v_mul_f64 v[94:95], v[46:47], s[0:1]
	v_mul_f64 v[46:47], v[46:47], s[18:19]
	v_fma_f64 v[86:87], v[14:15], s[26:27], v[84:85]
	v_fma_f64 v[84:85], v[14:15], s[26:27], -v[84:85]
	v_add_f64 v[76:77], v[86:87], v[100:101]
	v_fma_f64 v[86:87], v[38:39], s[18:19], v[96:97]
	v_mul_f64 v[100:101], v[42:43], s[18:19]
	v_add_f64 v[84:85], v[84:85], v[112:113]
	v_fma_f64 v[96:97], v[38:39], s[18:19], -v[96:97]
	v_mul_f64 v[112:113], v[36:37], s[38:39]
	v_add_f64 v[76:77], v[86:87], v[76:77]
	v_fma_f64 v[86:87], v[12:13], s[22:23], v[100:101]
	v_fma_f64 v[98:99], v[12:13], s[34:35], v[100:101]
	v_add_f64 v[84:85], v[96:97], v[84:85]
	v_mul_f64 v[96:97], v[26:27], s[28:29]
	v_fma_f64 v[100:101], v[28:29], s[0:1], -v[104:105]
	v_add_f64 v[82:83], v[86:87], v[82:83]
	v_fma_f64 v[86:87], v[28:29], s[0:1], v[104:105]
	v_add_f64 v[92:93], v[98:99], v[92:93]
	v_mul_f64 v[98:99], v[20:21], s[14:15]
	v_add_f64 v[84:85], v[100:101], v[84:85]
	v_fma_f64 v[100:101], v[18:19], s[14:15], v[96:97]
	v_add_f64 v[76:77], v[86:87], v[76:77]
	v_mul_f64 v[86:87], v[36:37], s[0:1]
	v_mul_f64 v[36:37], v[36:37], s[14:15]
	v_fma_f64 v[110:111], v[32:33], s[24:25], v[86:87]
	v_fma_f64 v[86:87], v[32:33], s[2:3], v[86:87]
	v_add_f64 v[82:83], v[110:111], v[82:83]
	v_mul_f64 v[110:111], v[34:35], s[42:43]
	v_add_f64 v[86:87], v[86:87], v[92:93]
	v_fma_f64 v[92:93], v[16:17], s[16:17], v[98:99]
	v_fma_f64 v[118:119], v[22:23], s[38:39], v[110:111]
	v_fma_f64 v[104:105], v[22:23], s[38:39], -v[110:111]
	v_add_f64 v[118:119], v[118:119], v[76:77]
	v_mul_f64 v[76:77], v[30:31], s[38:39]
	v_add_f64 v[84:85], v[104:105], v[84:85]
	v_mul_f64 v[104:105], v[44:45], s[16:17]
	v_mul_f64 v[44:45], v[44:45], s[20:21]
	v_fma_f64 v[124:125], v[24:25], s[40:41], v[76:77]
	v_fma_f64 v[110:111], v[24:25], s[42:43], v[76:77]
	v_add_f64 v[76:77], v[88:89], v[80:81]
	v_mul_f64 v[88:89], v[10:11], s[24:25]
	v_add_f64 v[80:81], v[100:101], v[118:119]
	v_fma_f64 v[100:101], v[8:9], s[2:3], v[94:95]
	v_fma_f64 v[94:95], v[8:9], s[24:25], v[94:95]
	v_mul_f64 v[10:11], v[10:11], s[34:35]
	v_add_f64 v[82:83], v[124:125], v[82:83]
	v_add_f64 v[86:87], v[110:111], v[86:87]
	v_mul_f64 v[110:111], v[42:43], s[14:15]
	v_mul_f64 v[42:43], v[42:43], s[26:27]
	v_add_f64 v[94:95], v[94:95], v[102:103]
	v_mul_f64 v[102:103], v[30:31], s[18:19]
	v_add_f64 v[82:83], v[92:93], v[82:83]
	v_fma_f64 v[92:93], v[18:19], s[14:15], -v[96:97]
	v_fma_f64 v[96:97], v[16:17], s[28:29], v[98:99]
	v_fma_f64 v[98:99], v[14:15], s[0:1], v[88:89]
	v_fma_f64 v[88:89], v[14:15], s[0:1], -v[88:89]
	v_mul_f64 v[30:31], v[30:31], s[12:13]
	v_add_f64 v[84:85], v[92:93], v[84:85]
	v_add_f64 v[86:87], v[96:97], v[86:87]
	;; [unrolled: 1-line block ×4, first 2 shown]
	v_fma_f64 v[98:99], v[38:39], s[14:15], v[104:105]
	v_fma_f64 v[100:101], v[12:13], s[28:29], v[110:111]
	v_mul_f64 v[106:107], v[40:41], s[42:43]
	v_add_f64 v[88:89], v[88:89], v[116:117]
	v_fma_f64 v[104:105], v[38:39], s[14:15], -v[104:105]
	v_fma_f64 v[110:111], v[12:13], s[16:17], v[110:111]
	v_mul_f64 v[114:115], v[34:35], s[34:35]
	v_mul_f64 v[40:41], v[40:41], s[28:29]
	v_add_f64 v[92:93], v[98:99], v[92:93]
	v_add_f64 v[96:97], v[100:101], v[96:97]
	v_fma_f64 v[98:99], v[28:29], s[38:39], v[106:107]
	v_fma_f64 v[100:101], v[32:33], s[40:41], v[112:113]
	v_add_f64 v[88:89], v[104:105], v[88:89]
	v_add_f64 v[94:95], v[110:111], v[94:95]
	v_fma_f64 v[104:105], v[28:29], s[38:39], -v[106:107]
	v_fma_f64 v[106:107], v[32:33], s[42:43], v[112:113]
	v_fma_f64 v[112:113], v[14:15], s[18:19], v[10:11]
	v_fma_f64 v[10:11], v[14:15], s[18:19], -v[10:11]
	v_add_f64 v[92:93], v[98:99], v[92:93]
	v_add_f64 v[96:97], v[100:101], v[96:97]
	v_fma_f64 v[98:99], v[22:23], s[18:19], v[114:115]
	v_fma_f64 v[100:101], v[24:25], s[22:23], v[102:103]
	v_add_f64 v[88:89], v[104:105], v[88:89]
	v_add_f64 v[94:95], v[106:107], v[94:95]
	v_fma_f64 v[104:105], v[22:23], s[18:19], -v[114:115]
	v_fma_f64 v[102:103], v[24:25], s[34:35], v[102:103]
	v_fma_f64 v[114:115], v[8:9], s[22:23], v[46:47]
	;; [unrolled: 1-line block ×3, first 2 shown]
	v_add_f64 v[14:15], v[112:113], v[90:91]
	v_fma_f64 v[90:91], v[38:39], s[26:27], v[44:45]
	v_add_f64 v[10:11], v[10:11], v[120:121]
	v_fma_f64 v[38:39], v[38:39], s[26:27], -v[44:45]
	v_fma_f64 v[44:45], v[28:29], s[14:15], v[40:41]
	v_add_f64 v[94:95], v[102:103], v[94:95]
	v_add_f64 v[46:47], v[114:115], v[108:109]
	v_fma_f64 v[102:103], v[12:13], s[36:37], v[42:43]
	v_add_f64 v[8:9], v[8:9], v[122:123]
	v_fma_f64 v[12:13], v[12:13], s[20:21], v[42:43]
	v_add_f64 v[14:15], v[90:91], v[14:15]
	v_mul_f64 v[34:35], v[34:35], s[6:7]
	v_add_f64 v[10:11], v[38:39], v[10:11]
	v_add_f64 v[92:93], v[98:99], v[92:93]
	;; [unrolled: 1-line block ×4, first 2 shown]
	v_fma_f64 v[46:47], v[32:33], s[16:17], v[36:37]
	v_add_f64 v[8:9], v[12:13], v[8:9]
	v_fma_f64 v[12:13], v[28:29], s[14:15], -v[40:41]
	v_fma_f64 v[28:29], v[32:33], s[28:29], v[36:37]
	v_mul_f64 v[98:99], v[26:27], s[6:7]
	v_mul_f64 v[100:101], v[20:21], s[12:13]
	v_add_f64 v[14:15], v[44:45], v[14:15]
	v_fma_f64 v[36:37], v[22:23], s[12:13], v[34:35]
	v_add_f64 v[32:33], v[46:47], v[42:43]
	v_fma_f64 v[38:39], v[24:25], s[30:31], v[30:31]
	v_mul_f64 v[26:27], v[26:27], s[24:25]
	v_mul_f64 v[20:21], v[20:21], s[0:1]
	v_add_f64 v[10:11], v[12:13], v[10:11]
	v_add_f64 v[8:9], v[28:29], v[8:9]
	v_fma_f64 v[12:13], v[22:23], s[12:13], -v[34:35]
	v_fma_f64 v[22:23], v[24:25], s[6:7], v[30:31]
	v_fma_f64 v[106:107], v[18:19], s[12:13], v[98:99]
	;; [unrolled: 1-line block ×3, first 2 shown]
	v_add_f64 v[30:31], v[36:37], v[14:15]
	v_add_f64 v[32:33], v[38:39], v[32:33]
	v_fma_f64 v[34:35], v[18:19], s[0:1], v[26:27]
	v_fma_f64 v[36:37], v[16:17], s[2:3], v[20:21]
	v_add_f64 v[88:89], v[104:105], v[88:89]
	v_fma_f64 v[24:25], v[18:19], s[12:13], -v[98:99]
	v_fma_f64 v[28:29], v[16:17], s[6:7], v[100:101]
	v_add_f64 v[38:39], v[12:13], v[10:11]
	v_add_f64 v[22:23], v[22:23], v[8:9]
	v_fma_f64 v[26:27], v[18:19], s[0:1], -v[26:27]
	v_fma_f64 v[40:41], v[16:17], s[24:25], v[20:21]
	v_add_f64 v[8:9], v[106:107], v[92:93]
	v_add_f64 v[10:11], v[110:111], v[96:97]
	;; [unrolled: 1-line block ×4, first 2 shown]
	s_movk_i32 s0, 0xd0
	v_add_f64 v[12:13], v[24:25], v[88:89]
	v_add_f64 v[14:15], v[28:29], v[94:95]
	v_add_f64 v[20:21], v[26:27], v[38:39]
	v_add_f64 v[22:23], v[40:41], v[22:23]
	v_mad_u32_u24 v24, v56, s0, v72
	ds_write_b128 v24, v[4:7]
	ds_write_b128 v24, v[48:51] offset:16
	ds_write_b128 v24, v[52:55] offset:32
	ds_write_b128 v24, v[68:71] offset:48
	ds_write_b128 v24, v[80:83] offset:64
	ds_write_b128 v24, v[8:11] offset:80
	ds_write_b128 v24, v[16:19] offset:96
	ds_write_b128 v24, v[20:23] offset:112
	ds_write_b128 v24, v[12:15] offset:128
	ds_write_b128 v24, v[84:87] offset:144
	ds_write_b128 v24, v[76:79] offset:160
	ds_write_b128 v24, v[64:67] offset:176
	ds_write_b128 v24, v[0:3] offset:192
	s_waitcnt lgkmcnt(0)
	; wave barrier
	s_waitcnt lgkmcnt(0)
	v_lshl_add_u32 v80, v63, 4, v72
	v_lshl_add_u32 v79, v62, 4, v72
	;; [unrolled: 1-line block ×5, first 2 shown]
	ds_read_b128 v[28:31], v73
	ds_read_b128 v[48:51], v75 offset:208
	ds_read_b128 v[40:43], v75 offset:240
	;; [unrolled: 1-line block ×3, first 2 shown]
	ds_read_b128 v[16:19], v79
	ds_read_b128 v[8:11], v78
	ds_read_b128 v[44:47], v75 offset:304
	ds_read_b128 v[36:39], v75 offset:336
	ds_read_b128 v[20:23], v77
	ds_read_b128 v[12:15], v76
	;; [unrolled: 1-line block ×3, first 2 shown]
	ds_read_b128 v[52:55], v75 offset:368
	v_cmp_ne_u32_e64 s[2:3], 0, v56
	v_mov_b32_e32 v69, 0
	v_cmp_eq_u32_e64 s[0:1], 0, v56
	v_mov_b32_e32 v70, 0
                                        ; implicit-def: $vgpr6_vgpr7
	s_and_saveexec_b64 s[6:7], s[0:1]
	s_cbranch_execz .LBB0_6
; %bb.5:
	ds_read_b128 v[0:3], v72 offset:192
	ds_read_b128 v[4:7], v72 offset:400
	v_mov_b32_e32 v69, 12
	v_mov_b32_e32 v70, 0
.LBB0_6:
	s_or_b64 exec, exec, s[6:7]
	v_mov_b32_e32 v57, 0
	v_lshlrev_b64 v[64:65], 4, v[56:57]
	v_mov_b32_e32 v101, s9
	v_add_co_u32_e64 v70, s[6:7], s8, v64
	v_mov_b32_e32 v64, v57
	v_lshlrev_b64 v[63:64], 4, v[63:64]
	v_addc_co_u32_e64 v71, s[6:7], v101, v65, s[6:7]
	v_add_co_u32_e64 v65, s[6:7], s8, v63
	v_mov_b32_e32 v63, v57
	v_lshlrev_b64 v[62:63], 4, v[62:63]
	v_addc_co_u32_e64 v66, s[6:7], v101, v64, s[6:7]
	;; [unrolled: 4-line block ×3, first 2 shown]
	global_load_dwordx4 v[81:84], v[70:71], off
	global_load_dwordx4 v[85:88], v[65:66], off
	v_add_co_u32_e64 v63, s[6:7], s8, v61
	v_mov_b32_e32 v61, v57
	v_addc_co_u32_e64 v64, s[6:7], v101, v62, s[6:7]
	v_lshlrev_b64 v[61:62], 4, v[60:61]
	v_mov_b32_e32 v60, v57
	global_load_dwordx4 v[89:92], v[67:68], off
	global_load_dwordx4 v[93:96], v[63:64], off
	v_add_co_u32_e64 v61, s[6:7], s8, v61
	v_lshlrev_b64 v[59:60], 4, v[59:60]
	v_addc_co_u32_e64 v62, s[6:7], v101, v62, s[6:7]
	v_add_co_u32_e64 v59, s[6:7], s8, v59
	global_load_dwordx4 v[97:100], v[61:62], off
	v_addc_co_u32_e64 v60, s[6:7], v101, v60, s[6:7]
	global_load_dwordx4 v[101:104], v[59:60], off
	s_waitcnt lgkmcnt(0)
	; wave barrier
	s_waitcnt vmcnt(5) lgkmcnt(0)
	v_mul_f64 v[105:106], v[50:51], v[83:84]
	v_mul_f64 v[83:84], v[48:49], v[83:84]
	s_waitcnt vmcnt(4)
	v_mul_f64 v[107:108], v[42:43], v[87:88]
	v_mul_f64 v[87:88], v[40:41], v[87:88]
	s_waitcnt vmcnt(3)
	v_mul_f64 v[109:110], v[34:35], v[91:92]
	v_mul_f64 v[91:92], v[32:33], v[91:92]
	s_waitcnt vmcnt(2)
	v_mul_f64 v[111:112], v[46:47], v[95:96]
	v_mul_f64 v[95:96], v[44:45], v[95:96]
	v_fma_f64 v[48:49], v[48:49], v[81:82], v[105:106]
	v_fma_f64 v[50:51], v[50:51], v[81:82], -v[83:84]
	v_fma_f64 v[40:41], v[40:41], v[85:86], v[107:108]
	v_fma_f64 v[42:43], v[42:43], v[85:86], -v[87:88]
	v_fma_f64 v[81:82], v[32:33], v[89:90], v[109:110]
	s_waitcnt vmcnt(1)
	v_mul_f64 v[113:114], v[38:39], v[99:100]
	v_mul_f64 v[99:100], v[36:37], v[99:100]
	v_fma_f64 v[83:84], v[34:35], v[89:90], -v[91:92]
	s_waitcnt vmcnt(0)
	v_mul_f64 v[115:116], v[54:55], v[103:104]
	v_mul_f64 v[103:104], v[52:53], v[103:104]
	v_fma_f64 v[44:45], v[44:45], v[93:94], v[111:112]
	v_fma_f64 v[46:47], v[46:47], v[93:94], -v[95:96]
	v_add_f64 v[32:33], v[28:29], -v[48:49]
	v_fma_f64 v[85:86], v[36:37], v[97:98], v[113:114]
	v_fma_f64 v[87:88], v[38:39], v[97:98], -v[99:100]
	v_add_f64 v[34:35], v[30:31], -v[50:51]
	;; [unrolled: 3-line block ×3, first 2 shown]
	v_add_f64 v[38:39], v[26:27], -v[42:43]
	v_add_f64 v[40:41], v[16:17], -v[81:82]
	;; [unrolled: 1-line block ×9, first 2 shown]
	v_fma_f64 v[28:29], v[28:29], 2.0, -v[32:33]
	v_fma_f64 v[30:31], v[30:31], 2.0, -v[34:35]
	;; [unrolled: 1-line block ×10, first 2 shown]
	ds_write_b128 v75, v[32:35] offset:208
	v_fma_f64 v[12:13], v[12:13], 2.0, -v[52:53]
	v_fma_f64 v[14:15], v[14:15], 2.0, -v[54:55]
	ds_write_b128 v75, v[28:31]
	ds_write_b128 v80, v[36:39] offset:208
	ds_write_b128 v80, v[24:27]
	ds_write_b128 v79, v[16:19]
	ds_write_b128 v79, v[40:43] offset:208
	ds_write_b128 v78, v[8:11]
	ds_write_b128 v78, v[44:47] offset:208
	ds_write_b128 v77, v[20:23]
	ds_write_b128 v77, v[48:51] offset:208
	ds_write_b128 v76, v[12:15]
	ds_write_b128 v76, v[52:55] offset:208
	s_and_saveexec_b64 s[6:7], s[0:1]
	s_cbranch_execz .LBB0_8
; %bb.7:
	v_lshlrev_b32_e32 v8, 4, v69
	global_load_dwordx4 v[8:11], v8, s[8:9]
	s_waitcnt vmcnt(0)
	v_mul_f64 v[12:13], v[4:5], v[10:11]
	v_mul_f64 v[10:11], v[6:7], v[10:11]
	v_fma_f64 v[6:7], v[6:7], v[8:9], -v[12:13]
	v_fma_f64 v[4:5], v[4:5], v[8:9], v[10:11]
	v_add_f64 v[6:7], v[2:3], -v[6:7]
	v_add_f64 v[4:5], v[0:1], -v[4:5]
	v_fma_f64 v[2:3], v[2:3], 2.0, -v[6:7]
	v_fma_f64 v[0:1], v[0:1], 2.0, -v[4:5]
	ds_write_b128 v72, v[0:3] offset:192
	ds_write_b128 v72, v[4:7] offset:400
.LBB0_8:
	s_or_b64 exec, exec, s[6:7]
	s_waitcnt lgkmcnt(0)
	; wave barrier
	s_waitcnt lgkmcnt(0)
	ds_read_b128 v[8:11], v73
	v_sub_u32_e32 v12, v72, v74
                                        ; implicit-def: $vgpr6_vgpr7
                                        ; implicit-def: $vgpr2_vgpr3
	s_and_saveexec_b64 s[6:7], s[2:3]
	s_xor_b64 s[2:3], exec, s[6:7]
	s_cbranch_execz .LBB0_10
; %bb.9:
	global_load_dwordx4 v[13:16], v[70:71], off offset:208
	ds_read_b128 v[0:3], v12 offset:416
	s_waitcnt lgkmcnt(0)
	v_add_f64 v[4:5], v[8:9], -v[0:1]
	v_add_f64 v[6:7], v[10:11], v[2:3]
	v_add_f64 v[2:3], v[10:11], -v[2:3]
	v_add_f64 v[0:1], v[8:9], v[0:1]
	v_mul_f64 v[10:11], v[4:5], 0.5
	v_mul_f64 v[4:5], v[6:7], 0.5
	;; [unrolled: 1-line block ×3, first 2 shown]
	s_waitcnt vmcnt(0)
	v_mul_f64 v[6:7], v[10:11], v[15:16]
	v_fma_f64 v[8:9], v[4:5], v[15:16], v[2:3]
	v_fma_f64 v[15:16], v[4:5], v[15:16], -v[2:3]
	v_fma_f64 v[17:18], v[0:1], 0.5, v[6:7]
	v_fma_f64 v[6:7], v[0:1], 0.5, -v[6:7]
	v_fma_f64 v[2:3], -v[13:14], v[10:11], v[8:9]
                                        ; implicit-def: $vgpr8_vgpr9
	v_fma_f64 v[0:1], v[4:5], v[13:14], v[17:18]
	v_fma_f64 v[4:5], -v[4:5], v[13:14], v[6:7]
	v_fma_f64 v[6:7], -v[13:14], v[10:11], v[15:16]
.LBB0_10:
	s_andn2_saveexec_b64 s[2:3], s[2:3]
	s_cbranch_execz .LBB0_12
; %bb.11:
	s_waitcnt lgkmcnt(0)
	v_add_f64 v[0:1], v[8:9], v[10:11]
	ds_read_b64 v[6:7], v72 offset:216
	v_add_f64 v[4:5], v[8:9], -v[10:11]
	v_mov_b32_e32 v2, 0
	v_mov_b32_e32 v3, 0
	s_waitcnt lgkmcnt(0)
	v_xor_b32_e32 v7, 0x80000000, v7
	ds_write_b64 v72, v[6:7] offset:216
	v_mov_b32_e32 v7, v3
	v_mov_b32_e32 v6, v2
.LBB0_12:
	s_or_b64 exec, exec, s[2:3]
	s_waitcnt lgkmcnt(0)
	global_load_dwordx4 v[8:11], v[65:66], off offset:208
	global_load_dwordx4 v[13:16], v[67:68], off offset:208
	ds_write_b128 v73, v[0:3]
	ds_write_b128 v12, v[4:7] offset:416
	ds_read_b128 v[0:3], v80
	ds_read_b128 v[4:7], v12 offset:384
	s_waitcnt lgkmcnt(0)
	v_add_f64 v[17:18], v[0:1], -v[4:5]
	v_add_f64 v[19:20], v[2:3], v[6:7]
	v_add_f64 v[2:3], v[2:3], -v[6:7]
	v_add_f64 v[0:1], v[0:1], v[4:5]
	v_mul_f64 v[6:7], v[17:18], 0.5
	v_mul_f64 v[21:22], v[19:20], 0.5
	;; [unrolled: 1-line block ×3, first 2 shown]
	s_waitcnt vmcnt(1)
	v_mul_f64 v[4:5], v[6:7], v[10:11]
	v_fma_f64 v[17:18], v[21:22], v[10:11], v[2:3]
	v_fma_f64 v[10:11], v[21:22], v[10:11], -v[2:3]
	v_fma_f64 v[19:20], v[0:1], 0.5, v[4:5]
	v_fma_f64 v[4:5], v[0:1], 0.5, -v[4:5]
	v_fma_f64 v[2:3], -v[8:9], v[6:7], v[17:18]
	v_fma_f64 v[6:7], -v[8:9], v[6:7], v[10:11]
	v_fma_f64 v[0:1], v[21:22], v[8:9], v[19:20]
	global_load_dwordx4 v[17:20], v[63:64], off offset:208
	v_fma_f64 v[4:5], -v[21:22], v[8:9], v[4:5]
	ds_write_b128 v80, v[0:3]
	ds_write_b128 v12, v[4:7] offset:384
	ds_read_b128 v[0:3], v79
	ds_read_b128 v[4:7], v12 offset:352
	s_waitcnt lgkmcnt(0)
	v_add_f64 v[8:9], v[0:1], -v[4:5]
	v_add_f64 v[10:11], v[2:3], v[6:7]
	v_add_f64 v[2:3], v[2:3], -v[6:7]
	v_add_f64 v[0:1], v[0:1], v[4:5]
	v_mul_f64 v[8:9], v[8:9], 0.5
	v_mul_f64 v[21:22], v[10:11], 0.5
	;; [unrolled: 1-line block ×3, first 2 shown]
	s_waitcnt vmcnt(1)
	v_mul_f64 v[4:5], v[8:9], v[15:16]
	v_fma_f64 v[6:7], v[21:22], v[15:16], v[2:3]
	v_fma_f64 v[10:11], v[21:22], v[15:16], -v[2:3]
	v_fma_f64 v[15:16], v[0:1], 0.5, v[4:5]
	v_fma_f64 v[23:24], v[0:1], 0.5, -v[4:5]
	global_load_dwordx4 v[0:3], v[61:62], off offset:208
	v_fma_f64 v[6:7], -v[13:14], v[8:9], v[6:7]
	v_fma_f64 v[10:11], -v[13:14], v[8:9], v[10:11]
	v_fma_f64 v[4:5], v[21:22], v[13:14], v[15:16]
	v_fma_f64 v[8:9], -v[21:22], v[13:14], v[23:24]
	ds_write_b128 v79, v[4:7]
	ds_write_b128 v12, v[8:11] offset:352
	ds_read_b128 v[4:7], v78
	ds_read_b128 v[8:11], v12 offset:320
	s_waitcnt lgkmcnt(0)
	v_add_f64 v[13:14], v[4:5], -v[8:9]
	v_add_f64 v[15:16], v[6:7], v[10:11]
	v_add_f64 v[6:7], v[6:7], -v[10:11]
	v_add_f64 v[4:5], v[4:5], v[8:9]
	v_mul_f64 v[13:14], v[13:14], 0.5
	v_mul_f64 v[21:22], v[15:16], 0.5
	;; [unrolled: 1-line block ×3, first 2 shown]
	s_waitcnt vmcnt(1)
	v_mul_f64 v[8:9], v[13:14], v[19:20]
	v_fma_f64 v[10:11], v[21:22], v[19:20], v[6:7]
	v_fma_f64 v[15:16], v[21:22], v[19:20], -v[6:7]
	v_fma_f64 v[19:20], v[4:5], 0.5, v[8:9]
	v_fma_f64 v[23:24], v[4:5], 0.5, -v[8:9]
	global_load_dwordx4 v[4:7], v[59:60], off offset:208
	v_fma_f64 v[10:11], -v[17:18], v[13:14], v[10:11]
	v_fma_f64 v[15:16], -v[17:18], v[13:14], v[15:16]
	v_fma_f64 v[8:9], v[21:22], v[17:18], v[19:20]
	v_fma_f64 v[13:14], -v[21:22], v[17:18], v[23:24]
	ds_write_b128 v78, v[8:11]
	ds_write_b128 v12, v[13:16] offset:320
	ds_read_b128 v[8:11], v77
	ds_read_b128 v[13:16], v12 offset:288
	s_waitcnt lgkmcnt(0)
	v_add_f64 v[17:18], v[8:9], -v[13:14]
	v_add_f64 v[19:20], v[10:11], v[15:16]
	v_add_f64 v[10:11], v[10:11], -v[15:16]
	v_add_f64 v[8:9], v[8:9], v[13:14]
	v_mul_f64 v[15:16], v[17:18], 0.5
	v_mul_f64 v[17:18], v[19:20], 0.5
	;; [unrolled: 1-line block ×3, first 2 shown]
	s_waitcnt vmcnt(1)
	v_mul_f64 v[13:14], v[15:16], v[2:3]
	v_fma_f64 v[19:20], v[17:18], v[2:3], v[10:11]
	v_fma_f64 v[2:3], v[17:18], v[2:3], -v[10:11]
	v_fma_f64 v[21:22], v[8:9], 0.5, v[13:14]
	v_fma_f64 v[13:14], v[8:9], 0.5, -v[13:14]
	v_fma_f64 v[10:11], -v[0:1], v[15:16], v[19:20]
	v_fma_f64 v[2:3], -v[0:1], v[15:16], v[2:3]
	v_fma_f64 v[8:9], v[17:18], v[0:1], v[21:22]
	v_fma_f64 v[0:1], -v[17:18], v[0:1], v[13:14]
	ds_write_b128 v77, v[8:11]
	ds_write_b128 v12, v[0:3] offset:288
	ds_read_b128 v[0:3], v76
	ds_read_b128 v[8:11], v12 offset:256
	s_waitcnt lgkmcnt(0)
	v_add_f64 v[13:14], v[0:1], -v[8:9]
	v_add_f64 v[15:16], v[2:3], v[10:11]
	v_add_f64 v[2:3], v[2:3], -v[10:11]
	v_add_f64 v[0:1], v[0:1], v[8:9]
	v_mul_f64 v[10:11], v[13:14], 0.5
	v_mul_f64 v[13:14], v[15:16], 0.5
	;; [unrolled: 1-line block ×3, first 2 shown]
	s_waitcnt vmcnt(0)
	v_mul_f64 v[8:9], v[10:11], v[6:7]
	v_fma_f64 v[15:16], v[13:14], v[6:7], v[2:3]
	v_fma_f64 v[6:7], v[13:14], v[6:7], -v[2:3]
	v_fma_f64 v[17:18], v[0:1], 0.5, v[8:9]
	v_fma_f64 v[8:9], v[0:1], 0.5, -v[8:9]
	v_fma_f64 v[2:3], -v[4:5], v[10:11], v[15:16]
	v_fma_f64 v[6:7], -v[4:5], v[10:11], v[6:7]
	v_fma_f64 v[0:1], v[13:14], v[4:5], v[17:18]
	v_fma_f64 v[4:5], -v[13:14], v[4:5], v[8:9]
	ds_write_b128 v76, v[0:3]
	ds_write_b128 v12, v[4:7] offset:256
	s_and_saveexec_b64 s[2:3], s[0:1]
	s_cbranch_execz .LBB0_14
; %bb.13:
	ds_read_b128 v[0:3], v72 offset:192
	ds_read_b128 v[4:7], v72 offset:224
	s_load_dwordx4 s[12:15], s[8:9], 0x190
	s_waitcnt lgkmcnt(0)
	v_add_f64 v[8:9], v[0:1], -v[4:5]
	v_add_f64 v[10:11], v[2:3], v[6:7]
	v_add_f64 v[2:3], v[2:3], -v[6:7]
	v_add_f64 v[0:1], v[0:1], v[4:5]
	v_mul_f64 v[6:7], v[8:9], 0.5
	v_mul_f64 v[8:9], v[10:11], 0.5
	v_mul_f64 v[2:3], v[2:3], 0.5
	v_mul_f64 v[4:5], v[6:7], s[14:15]
	v_fma_f64 v[10:11], v[8:9], s[14:15], v[2:3]
	v_fma_f64 v[12:13], v[8:9], s[14:15], -v[2:3]
	v_fma_f64 v[14:15], v[0:1], 0.5, v[4:5]
	v_fma_f64 v[4:5], v[0:1], 0.5, -v[4:5]
	v_fma_f64 v[2:3], -s[12:13], v[6:7], v[10:11]
	v_fma_f64 v[6:7], -s[12:13], v[6:7], v[12:13]
	v_fma_f64 v[0:1], v[8:9], s[12:13], v[14:15]
	v_fma_f64 v[4:5], -v[8:9], s[12:13], v[4:5]
	ds_write_b128 v72, v[0:3] offset:192
	ds_write_b128 v72, v[4:7] offset:224
.LBB0_14:
	s_or_b64 exec, exec, s[2:3]
	s_waitcnt lgkmcnt(0)
	; wave barrier
	s_waitcnt lgkmcnt(0)
	s_and_saveexec_b64 s[0:1], vcc
	s_cbranch_execz .LBB0_17
; %bb.15:
	v_mad_u64_u32 v[0:1], s[0:1], s10, v58, 0
	s_load_dwordx2 s[0:1], s[4:5], 0x58
	v_mov_b32_e32 v57, 0
	v_mad_u64_u32 v[1:2], s[2:3], s11, v58, v[1:2]
	v_lshl_add_u32 v2, v56, 4, v72
	s_waitcnt lgkmcnt(0)
	v_mov_b32_e32 v3, s1
	v_lshlrev_b64 v[0:1], 4, v[0:1]
	v_lshlrev_b64 v[7:8], 4, v[56:57]
	v_add_co_u32_e32 v0, vcc, s0, v0
	v_addc_co_u32_e32 v1, vcc, v3, v1, vcc
	ds_read_b128 v[3:6], v2
	v_add_co_u32_e32 v11, vcc, v0, v7
	v_addc_co_u32_e32 v12, vcc, v1, v8, vcc
	ds_read_b128 v[7:10], v2 offset:32
	s_waitcnt lgkmcnt(1)
	global_store_dwordx4 v[11:12], v[3:6], off
	s_nop 0
	v_add_u32_e32 v3, 2, v56
	v_mov_b32_e32 v4, v57
	v_lshlrev_b64 v[3:4], 4, v[3:4]
	v_add_co_u32_e32 v3, vcc, v0, v3
	v_addc_co_u32_e32 v4, vcc, v1, v4, vcc
	s_waitcnt lgkmcnt(0)
	global_store_dwordx4 v[3:4], v[7:10], off
	ds_read_b128 v[3:6], v2 offset:64
	v_add_u32_e32 v7, 4, v56
	v_mov_b32_e32 v8, v57
	v_lshlrev_b64 v[7:8], 4, v[7:8]
	v_add_co_u32_e32 v11, vcc, v0, v7
	v_addc_co_u32_e32 v12, vcc, v1, v8, vcc
	ds_read_b128 v[7:10], v2 offset:96
	s_waitcnt lgkmcnt(1)
	global_store_dwordx4 v[11:12], v[3:6], off
	s_nop 0
	v_add_u32_e32 v3, 6, v56
	v_mov_b32_e32 v4, v57
	v_lshlrev_b64 v[3:4], 4, v[3:4]
	v_add_co_u32_e32 v3, vcc, v0, v3
	v_addc_co_u32_e32 v4, vcc, v1, v4, vcc
	s_waitcnt lgkmcnt(0)
	global_store_dwordx4 v[3:4], v[7:10], off
	ds_read_b128 v[3:6], v2 offset:128
	v_add_u32_e32 v7, 8, v56
	v_mov_b32_e32 v8, v57
	v_lshlrev_b64 v[7:8], 4, v[7:8]
	;; [unrolled: 17-line block ×4, first 2 shown]
	v_add_co_u32_e32 v11, vcc, v0, v7
	v_addc_co_u32_e32 v12, vcc, v1, v8, vcc
	ds_read_b128 v[7:10], v2 offset:288
	s_waitcnt lgkmcnt(1)
	global_store_dwordx4 v[11:12], v[3:6], off
	s_nop 0
	v_add_u32_e32 v3, 18, v56
	v_mov_b32_e32 v4, v57
	v_lshlrev_b64 v[3:4], 4, v[3:4]
	v_add_co_u32_e32 v11, vcc, v0, v3
	v_addc_co_u32_e32 v12, vcc, v1, v4, vcc
	ds_read_b128 v[3:6], v2 offset:320
	s_waitcnt lgkmcnt(1)
	global_store_dwordx4 v[11:12], v[7:10], off
	s_nop 0
	v_add_u32_e32 v7, 20, v56
	v_mov_b32_e32 v8, v57
	v_lshlrev_b64 v[7:8], 4, v[7:8]
	;; [unrolled: 9-line block ×3, first 2 shown]
	v_add_co_u32_e32 v3, vcc, v0, v3
	v_addc_co_u32_e32 v4, vcc, v1, v4, vcc
	s_waitcnt lgkmcnt(0)
	global_store_dwordx4 v[3:4], v[7:10], off
	ds_read_b128 v[3:6], v2 offset:384
	v_add_u32_e32 v7, 24, v56
	v_mov_b32_e32 v8, v57
	v_lshlrev_b64 v[7:8], 4, v[7:8]
	v_add_co_u32_e32 v7, vcc, v0, v7
	v_addc_co_u32_e32 v8, vcc, v1, v8, vcc
	v_cmp_eq_u32_e32 vcc, 1, v56
	s_waitcnt lgkmcnt(0)
	global_store_dwordx4 v[7:8], v[3:6], off
	s_and_b64 exec, exec, vcc
	s_cbranch_execz .LBB0_17
; %bb.16:
	ds_read_b128 v[2:5], v2 offset:400
	s_waitcnt lgkmcnt(0)
	global_store_dwordx4 v[0:1], v[2:5], off offset:416
.LBB0_17:
	s_endpgm
	.section	.rodata,"a",@progbits
	.p2align	6, 0x0
	.amdhsa_kernel fft_rtc_back_len26_factors_13_2_wgs_64_tpt_2_dim1_dp_op_CI_CI_unitstride_sbrr_R2C_dirReg
		.amdhsa_group_segment_fixed_size 0
		.amdhsa_private_segment_fixed_size 0
		.amdhsa_kernarg_size 96
		.amdhsa_user_sgpr_count 6
		.amdhsa_user_sgpr_private_segment_buffer 1
		.amdhsa_user_sgpr_dispatch_ptr 0
		.amdhsa_user_sgpr_queue_ptr 0
		.amdhsa_user_sgpr_kernarg_segment_ptr 1
		.amdhsa_user_sgpr_dispatch_id 0
		.amdhsa_user_sgpr_flat_scratch_init 0
		.amdhsa_user_sgpr_private_segment_size 0
		.amdhsa_uses_dynamic_stack 0
		.amdhsa_system_sgpr_private_segment_wavefront_offset 0
		.amdhsa_system_sgpr_workgroup_id_x 1
		.amdhsa_system_sgpr_workgroup_id_y 0
		.amdhsa_system_sgpr_workgroup_id_z 0
		.amdhsa_system_sgpr_workgroup_info 0
		.amdhsa_system_vgpr_workitem_id 0
		.amdhsa_next_free_vgpr 126
		.amdhsa_next_free_sgpr 44
		.amdhsa_reserve_vcc 1
		.amdhsa_reserve_flat_scratch 0
		.amdhsa_float_round_mode_32 0
		.amdhsa_float_round_mode_16_64 0
		.amdhsa_float_denorm_mode_32 3
		.amdhsa_float_denorm_mode_16_64 3
		.amdhsa_dx10_clamp 1
		.amdhsa_ieee_mode 1
		.amdhsa_fp16_overflow 0
		.amdhsa_exception_fp_ieee_invalid_op 0
		.amdhsa_exception_fp_denorm_src 0
		.amdhsa_exception_fp_ieee_div_zero 0
		.amdhsa_exception_fp_ieee_overflow 0
		.amdhsa_exception_fp_ieee_underflow 0
		.amdhsa_exception_fp_ieee_inexact 0
		.amdhsa_exception_int_div_zero 0
	.end_amdhsa_kernel
	.text
.Lfunc_end0:
	.size	fft_rtc_back_len26_factors_13_2_wgs_64_tpt_2_dim1_dp_op_CI_CI_unitstride_sbrr_R2C_dirReg, .Lfunc_end0-fft_rtc_back_len26_factors_13_2_wgs_64_tpt_2_dim1_dp_op_CI_CI_unitstride_sbrr_R2C_dirReg
                                        ; -- End function
	.section	.AMDGPU.csdata,"",@progbits
; Kernel info:
; codeLenInByte = 7388
; NumSgprs: 48
; NumVgprs: 126
; ScratchSize: 0
; MemoryBound: 0
; FloatMode: 240
; IeeeMode: 1
; LDSByteSize: 0 bytes/workgroup (compile time only)
; SGPRBlocks: 5
; VGPRBlocks: 31
; NumSGPRsForWavesPerEU: 48
; NumVGPRsForWavesPerEU: 126
; Occupancy: 2
; WaveLimiterHint : 1
; COMPUTE_PGM_RSRC2:SCRATCH_EN: 0
; COMPUTE_PGM_RSRC2:USER_SGPR: 6
; COMPUTE_PGM_RSRC2:TRAP_HANDLER: 0
; COMPUTE_PGM_RSRC2:TGID_X_EN: 1
; COMPUTE_PGM_RSRC2:TGID_Y_EN: 0
; COMPUTE_PGM_RSRC2:TGID_Z_EN: 0
; COMPUTE_PGM_RSRC2:TIDIG_COMP_CNT: 0
	.type	__hip_cuid_64abbd79f9bfdea4,@object ; @__hip_cuid_64abbd79f9bfdea4
	.section	.bss,"aw",@nobits
	.globl	__hip_cuid_64abbd79f9bfdea4
__hip_cuid_64abbd79f9bfdea4:
	.byte	0                               ; 0x0
	.size	__hip_cuid_64abbd79f9bfdea4, 1

	.ident	"AMD clang version 19.0.0git (https://github.com/RadeonOpenCompute/llvm-project roc-6.4.0 25133 c7fe45cf4b819c5991fe208aaa96edf142730f1d)"
	.section	".note.GNU-stack","",@progbits
	.addrsig
	.addrsig_sym __hip_cuid_64abbd79f9bfdea4
	.amdgpu_metadata
---
amdhsa.kernels:
  - .args:
      - .actual_access:  read_only
        .address_space:  global
        .offset:         0
        .size:           8
        .value_kind:     global_buffer
      - .actual_access:  read_only
        .address_space:  global
        .offset:         8
        .size:           8
        .value_kind:     global_buffer
      - .actual_access:  read_only
        .address_space:  global
        .offset:         16
        .size:           8
        .value_kind:     global_buffer
      - .actual_access:  read_only
        .address_space:  global
        .offset:         24
        .size:           8
        .value_kind:     global_buffer
      - .offset:         32
        .size:           8
        .value_kind:     by_value
      - .actual_access:  read_only
        .address_space:  global
        .offset:         40
        .size:           8
        .value_kind:     global_buffer
      - .actual_access:  read_only
        .address_space:  global
        .offset:         48
        .size:           8
        .value_kind:     global_buffer
      - .offset:         56
        .size:           4
        .value_kind:     by_value
      - .actual_access:  read_only
        .address_space:  global
        .offset:         64
        .size:           8
        .value_kind:     global_buffer
      - .actual_access:  read_only
        .address_space:  global
        .offset:         72
        .size:           8
        .value_kind:     global_buffer
      - .actual_access:  read_only
        .address_space:  global
        .offset:         80
        .size:           8
        .value_kind:     global_buffer
      - .actual_access:  write_only
        .address_space:  global
        .offset:         88
        .size:           8
        .value_kind:     global_buffer
    .group_segment_fixed_size: 0
    .kernarg_segment_align: 8
    .kernarg_segment_size: 96
    .language:       OpenCL C
    .language_version:
      - 2
      - 0
    .max_flat_workgroup_size: 64
    .name:           fft_rtc_back_len26_factors_13_2_wgs_64_tpt_2_dim1_dp_op_CI_CI_unitstride_sbrr_R2C_dirReg
    .private_segment_fixed_size: 0
    .sgpr_count:     48
    .sgpr_spill_count: 0
    .symbol:         fft_rtc_back_len26_factors_13_2_wgs_64_tpt_2_dim1_dp_op_CI_CI_unitstride_sbrr_R2C_dirReg.kd
    .uniform_work_group_size: 1
    .uses_dynamic_stack: false
    .vgpr_count:     126
    .vgpr_spill_count: 0
    .wavefront_size: 64
amdhsa.target:   amdgcn-amd-amdhsa--gfx906
amdhsa.version:
  - 1
  - 2
...

	.end_amdgpu_metadata
